;; amdgpu-corpus repo=ROCm/bitsandbytes kind=harvested arch=n/a opt=n/a
	.text
	.amdgcn_target "amdgcn-amd-amdhsa--gfx1100"
	.amdhsa_code_object_version 6
	.protected	_Z38kPreconditionOptimizerStatic8bit1StateIfLi5EEvPT_S1_PhPffffiS3_S3_S3_ffi ; -- Begin function _Z38kPreconditionOptimizerStatic8bit1StateIfLi5EEvPT_S1_PhPffffiS3_S3_S3_ffi
	.globl	_Z38kPreconditionOptimizerStatic8bit1StateIfLi5EEvPT_S1_PhPffffiS3_S3_S3_ffi
	.p2align	8
	.type	_Z38kPreconditionOptimizerStatic8bit1StateIfLi5EEvPT_S1_PhPffffiS3_S3_S3_ffi,@function
_Z38kPreconditionOptimizerStatic8bit1StateIfLi5EEvPT_S1_PhPffffiS3_S3_S3_ffi: ; @_Z38kPreconditionOptimizerStatic8bit1StateIfLi5EEvPT_S1_PhPffffiS3_S3_S3_ffi
; %bb.0:
	s_clause 0x1
	s_load_b32 s2, s[0:1], 0x58
	s_load_b32 s3, s[0:1], 0x64
	s_mov_b32 s4, exec_lo
	v_cmpx_gt_u32_e32 0x100, v0
	s_cbranch_execz .LBB79_2
; %bb.1:
	s_load_b64 s[6:7], s[0:1], 0x30
	v_lshlrev_b32_e32 v1, 2, v0
	s_waitcnt lgkmcnt(0)
	global_load_b32 v2, v1, s[6:7]
	s_waitcnt vmcnt(0)
	ds_store_b32 v1, v2 offset:16896
.LBB79_2:
	s_or_b32 exec_lo, exec_lo, s4
	s_load_b64 s[18:19], s[0:1], 0x4c
	s_waitcnt lgkmcnt(0)
	s_and_b32 s3, 0xffff, s3
	v_and_b32_e32 v22, 0xe0, v0
	s_mul_i32 s3, s15, s3
	s_lshl_b32 s25, s2, 12
	s_lshl_b32 s2, s3, 2
	s_mov_b32 s4, -1
	s_cmp_lt_u32 s2, s25
	s_barrier
	buffer_gl0_inv
	s_cbranch_scc1 .LBB79_4
; %bb.3:
	s_lshl_b32 s3, s15, 12
	v_and_b32_e32 v1, 0xe0, v0
	s_sub_i32 s4, s19, s3
	s_mov_b32 s3, 0xff7fffff
	s_min_u32 s24, s4, 0x1000
	s_mov_b32 s4, 0
	s_branch .LBB79_5
.LBB79_4:
                                        ; implicit-def: $sgpr3
                                        ; implicit-def: $sgpr24
                                        ; implicit-def: $vgpr1
.LBB79_5:
	s_load_b128 s[20:23], s[0:1], 0x38
	v_mbcnt_lo_u32_b32 v21, -1, 0
	v_mov_b32_e32 v78, s3
	s_and_not1_b32 vcc_lo, exec_lo, s4
	s_cbranch_vccnz .LBB79_73
; %bb.6:
	s_clause 0x1
	s_load_b128 s[4:7], s[0:1], 0x8
	s_load_b32 s26, s[0:1], 0x24
	v_dual_mov_b32 v78, 0xff7fffff :: v_dual_lshlrev_b32 v1, 4, v0
	v_lshlrev_b32_e32 v2, 2, v21
	v_or_b32_e32 v12, v21, v22
	s_mov_b32 s36, 0
	s_delay_alu instid0(VALU_DEP_3) | instskip(SKIP_1) | instid1(VALU_DEP_2)
	v_and_b32_e32 v1, 0xe00, v1
	s_sub_i32 s19, s19, s2
	v_lshlrev_b32_e32 v15, 4, v12
	v_bfe_u32 v12, v12, 1, 27
	s_delay_alu instid0(VALU_DEP_3) | instskip(SKIP_1) | instid1(VALU_DEP_3)
	v_or_b32_e32 v23, v21, v1
	v_lshlrev_b32_e32 v3, 2, v1
	v_add_lshl_u32 v61, v12, v15, 2
	s_delay_alu instid0(VALU_DEP_3)
	v_or_b32_e32 v24, 32, v23
	v_or_b32_e32 v29, 0xc0, v23
	;; [unrolled: 1-line block ×3, first 2 shown]
	s_waitcnt lgkmcnt(0)
	v_add_co_u32 v2, s3, s4, v2
	v_or_b32_e32 v25, 64, v23
	v_or_b32_e32 v26, 0x60, v23
	;; [unrolled: 1-line block ×3, first 2 shown]
	s_delay_alu instid0(VALU_DEP_4) | instskip(SKIP_4) | instid1(VALU_DEP_4)
	v_add_co_u32 v35, vcc_lo, v2, v3
	v_lshrrev_b32_e32 v2, 5, v1
	v_or_b32_e32 v31, 0x100, v23
	v_add_co_ci_u32_e64 v4, null, s5, 0, s3
	v_or_b32_e32 v38, 0x1a0, v23
	v_add_nc_u32_e32 v41, v2, v23
	v_lshrrev_b32_e32 v2, 5, v24
	v_lshrrev_b32_e32 v6, 5, v29
	;; [unrolled: 1-line block ×3, first 2 shown]
	v_or_b32_e32 v28, 0xa0, v23
	v_or_b32_e32 v30, 0xe0, v23
	v_add_lshl_u32 v43, v2, v24, 2
	v_and_b32_e32 v2, 0x70, v2
	v_or_b32_e32 v32, 0x120, v23
	v_or_b32_e32 v33, 0x140, v23
	v_add_co_ci_u32_e32 v36, vcc_lo, 0, v4, vcc_lo
	v_lshrrev_b32_e32 v3, 5, v25
	v_lshrrev_b32_e32 v4, 5, v26
	v_lshrrev_b32_e32 v5, 5, v27
	v_lshrrev_b32_e32 v7, 5, v31
	v_add_nc_u32_e32 v56, v11, v37
	v_lshrrev_b32_e32 v11, 5, v38
	v_add_nc_u32_e32 v64, v2, v24
	v_and_b32_e32 v2, 0x74, v6
	v_or_b32_e32 v34, 0x160, v23
	v_or_b32_e32 v39, 0x1c0, v23
	;; [unrolled: 1-line block ×3, first 2 shown]
	v_add_lshl_u32 v44, v3, v25, 2
	v_add_lshl_u32 v45, v4, v26, 2
	v_add_nc_u32_e32 v46, v5, v27
	v_lshrrev_b32_e32 v5, 5, v28
	v_lshrrev_b32_e32 v8, 5, v30
	v_add_nc_u32_e32 v50, v7, v31
	v_lshrrev_b32_e32 v7, 5, v32
	v_lshrrev_b32_e32 v9, 5, v33
	v_add_co_u32 v16, s3, s6, v21
	v_and_b32_e32 v3, 0x70, v3
	v_and_b32_e32 v4, 0x70, v4
	v_add_nc_u32_e32 v68, v2, v29
	v_and_b32_e32 v2, 0x7c, v11
	v_add_lshl_u32 v48, v5, v28, 2
	v_lshrrev_b32_e32 v10, 5, v34
	v_lshrrev_b32_e32 v13, 5, v39
	;; [unrolled: 1-line block ×3, first 2 shown]
	v_add_nc_u32_e32 v65, v3, v25
	v_add_nc_u32_e32 v66, v4, v26
	v_and_b32_e32 v3, 0x74, v8
	v_and_b32_e32 v4, 0x78, v7
	v_dual_mov_b32 v2, 0 :: v_dual_add_nc_u32 v73, v2, v38
	v_add_co_u32 v62, vcc_lo, v16, v1
	v_and_b32_e32 v1, 0x74, v5
	v_and_b32_e32 v5, 0x78, v9
	v_add_co_ci_u32_e64 v17, null, s7, 0, s3
	v_add_nc_u32_e32 v69, v3, v30
	s_delay_alu instid0(VALU_DEP_4)
	v_add_nc_u32_e32 v67, v1, v28
	v_add_nc_u32_e32 v70, v4, v32
	;; [unrolled: 1-line block ×3, first 2 shown]
	v_and_b32_e32 v1, 0x78, v10
	v_and_b32_e32 v3, 0x7c, v13
	;; [unrolled: 1-line block ×4, first 2 shown]
	v_lshlrev_b32_e32 v42, 2, v41
	v_lshlrev_b32_e32 v47, 2, v46
	v_add_lshl_u32 v49, v6, v29, 2
	v_add_lshl_u32 v51, v8, v30, 2
	v_lshlrev_b32_e32 v52, 2, v50
	v_add_lshl_u32 v53, v7, v32, 2
	v_add_lshl_u32 v54, v9, v33, 2
	;; [unrolled: 1-line block ×3, first 2 shown]
	v_lshlrev_b32_e32 v57, 2, v56
	v_add_lshl_u32 v58, v11, v38, 2
	v_add_lshl_u32 v59, v13, v39, 2
	;; [unrolled: 1-line block ×3, first 2 shown]
	v_add_co_ci_u32_e32 v63, vcc_lo, 0, v17, vcc_lo
	v_add_nc_u32_e32 v72, v1, v34
	v_add_nc_u32_e32 v74, v3, v39
	;; [unrolled: 1-line block ×4, first 2 shown]
	v_sub_f32_e64 v77, 1.0, s26
	v_mov_b32_e32 v1, s2
	s_branch .LBB79_8
.LBB79_7:                               ;   in Loop: Header=BB79_8 Depth=1
	s_or_b32 exec_lo, exec_lo, s2
	s_waitcnt vmcnt(0)
	ds_store_b8 v41, v80
	ds_store_b8 v64, v94
	;; [unrolled: 1-line block ×16, first 2 shown]
	; wave barrier
	ds_load_b128 v[79:82], v76
	s_load_b32 s2, s[20:21], 0x0
	v_mul_f32_e32 v3, s18, v3
	s_sub_i32 s19, s19, s25
	v_dual_mul_f32 v18, s18, v18 :: v_dual_mul_f32 v17, s18, v17
	v_dual_mul_f32 v15, s18, v15 :: v_dual_mul_f32 v16, s18, v16
	v_mul_f32_e32 v14, s18, v14
	v_mul_f32_e32 v12, s18, v12
	;; [unrolled: 1-line block ×5, first 2 shown]
	s_waitcnt lgkmcnt(0)
	v_dual_mul_f32 v4, s18, v4 :: v_dual_and_b32 v19, 0xff, v79
	v_lshrrev_b32_e32 v20, 6, v79
	v_lshrrev_b32_e32 v83, 14, v79
	;; [unrolled: 1-line block ×3, first 2 shown]
	v_and_b32_e32 v84, 0xff, v80
	v_lshlrev_b32_e32 v19, 2, v19
	v_and_b32_e32 v20, 0x3fc, v20
	v_and_b32_e32 v83, 0x3fc, v83
	;; [unrolled: 1-line block ×3, first 2 shown]
	v_lshlrev_b32_e32 v84, 2, v84
	ds_load_b32 v19, v19 offset:16896
	ds_load_b32 v20, v20 offset:16896
	;; [unrolled: 1-line block ×5, first 2 shown]
	v_lshrrev_b32_e32 v85, 6, v80
	v_lshrrev_b32_e32 v86, 14, v80
	;; [unrolled: 1-line block ×3, first 2 shown]
	s_delay_alu instid0(VALU_DEP_2) | instskip(SKIP_1) | instid1(VALU_DEP_2)
	v_and_b32_e32 v86, 0x3fc, v86
	s_waitcnt lgkmcnt(4)
	v_dual_mul_f32 v19, s2, v19 :: v_dual_and_b32 v80, 0x3fc, v80
	s_waitcnt lgkmcnt(3)
	v_dual_mul_f32 v20, s2, v20 :: v_dual_and_b32 v85, 0x3fc, v85
	s_waitcnt lgkmcnt(2)
	v_mul_f32_e32 v83, s2, v83
	s_waitcnt lgkmcnt(0)
	v_dual_mul_f32 v79, s2, v79 :: v_dual_mul_f32 v84, s2, v84
	v_mul_f32_e32 v20, s26, v20
	ds_load_b32 v85, v85 offset:16896
	ds_load_b32 v86, v86 offset:16896
	;; [unrolled: 1-line block ×3, first 2 shown]
	v_mul_f32_e32 v19, s26, v19
	v_dual_mul_f32 v83, s26, v83 :: v_dual_fmac_f32 v20, v77, v18
	s_delay_alu instid0(VALU_DEP_1) | instskip(SKIP_4) | instid1(VALU_DEP_2)
	v_fmac_f32_e32 v83, v77, v15
	v_mul_f32_e32 v15, s26, v84
	s_waitcnt lgkmcnt(1)
	v_dual_mul_f32 v85, s2, v85 :: v_dual_mul_f32 v18, s2, v86
	v_mul_f32_e32 v79, s26, v79
	v_dual_fmac_f32 v19, v77, v17 :: v_dual_mul_f32 v18, s26, v18
	s_delay_alu instid0(VALU_DEP_2) | instskip(SKIP_1) | instid1(VALU_DEP_3)
	v_dual_fmac_f32 v79, v77, v16 :: v_dual_mul_f32 v16, s26, v85
	v_mul_f32_e32 v13, s18, v13
	v_max3_f32 v17, v78, |v19|, |v20|
	v_and_b32_e32 v20, 0xff, v82
	v_lshrrev_b32_e32 v78, 6, v82
	v_fmac_f32_e32 v16, v77, v14
	v_and_b32_e32 v14, 0xff, v81
	v_fmac_f32_e32 v15, v77, v13
	s_waitcnt lgkmcnt(0)
	v_dual_mul_f32 v19, s2, v80 :: v_dual_and_b32 v78, 0x3fc, v78
	v_lshrrev_b32_e32 v80, 22, v82
	v_lshlrev_b32_e32 v14, 2, v14
	v_max3_f32 v13, v17, |v83|, |v79|
	v_lshrrev_b32_e32 v17, 6, v81
	v_lshrrev_b32_e32 v79, 14, v82
	v_dual_mul_f32 v19, s26, v19 :: v_dual_lshlrev_b32 v20, 2, v20
	s_delay_alu instid0(VALU_DEP_4)
	v_max3_f32 v13, v13, |v15|, |v16|
	ds_load_b32 v14, v14 offset:16896
	v_and_b32_e32 v15, 0x3fc, v17
	v_lshrrev_b32_e32 v16, 14, v81
	v_mul_f32_e32 v11, s18, v11
	v_lshrrev_b32_e32 v17, 22, v81
	v_fmac_f32_e32 v19, v77, v12
	ds_load_b32 v15, v15 offset:16896
	v_and_b32_e32 v16, 0x3fc, v16
	v_dual_fmac_f32 v18, v77, v11 :: v_dual_and_b32 v17, 0x3fc, v17
	ds_load_b32 v16, v16 offset:16896
	v_max3_f32 v13, v13, |v18|, |v19|
	ds_load_b32 v17, v17 offset:16896
	v_dual_mul_f32 v9, s18, v9 :: v_dual_and_b32 v80, 0x3fc, v80
	s_waitcnt lgkmcnt(3)
	v_dual_mul_f32 v14, s2, v14 :: v_dual_and_b32 v79, 0x3fc, v79
	s_waitcnt lgkmcnt(2)
	s_delay_alu instid0(VALU_DEP_1)
	v_dual_mul_f32 v12, s26, v14 :: v_dual_mul_f32 v11, s2, v15
	ds_load_b32 v20, v20 offset:16896
	ds_load_b32 v78, v78 offset:16896
	;; [unrolled: 1-line block ×4, first 2 shown]
	v_mul_f32_e32 v7, s18, v7
	s_waitcnt lgkmcnt(5)
	v_dual_mul_f32 v5, s18, v5 :: v_dual_mul_f32 v14, s2, v16
	v_dual_mul_f32 v11, s26, v11 :: v_dual_fmac_f32 v12, v77, v9
	s_waitcnt lgkmcnt(4)
	v_mul_f32_e32 v9, s2, v17
	s_delay_alu instid0(VALU_DEP_2) | instskip(SKIP_1) | instid1(VALU_DEP_2)
	v_fmac_f32_e32 v11, v77, v10
	v_mul_f32_e32 v10, s26, v14
	v_max3_f32 v11, v13, |v12|, |v11|
	s_waitcnt lgkmcnt(3)
	v_dual_mul_f32 v12, s2, v20 :: v_dual_mul_f32 v9, s26, v9
	s_waitcnt lgkmcnt(2)
	v_dual_fmac_f32 v10, v77, v7 :: v_dual_mul_f32 v7, s2, v78
	s_delay_alu instid0(VALU_DEP_2) | instskip(NEXT) | instid1(VALU_DEP_3)
	v_fmac_f32_e32 v9, v77, v8
	v_mul_f32_e32 v8, s26, v12
	s_delay_alu instid0(VALU_DEP_2) | instskip(SKIP_2) | instid1(VALU_DEP_3)
	v_max3_f32 v9, v11, |v10|, |v9|
	s_waitcnt lgkmcnt(1)
	v_mul_f32_e32 v10, s2, v79
	v_dual_mul_f32 v7, s26, v7 :: v_dual_fmac_f32 v8, v77, v5
	s_waitcnt lgkmcnt(0)
	v_mul_f32_e32 v5, s2, v80
	v_add_co_u32 v1, s2, v1, s25
	s_delay_alu instid0(VALU_DEP_3) | instskip(NEXT) | instid1(VALU_DEP_3)
	v_fmac_f32_e32 v7, v77, v6
	v_dual_mul_f32 v6, s26, v10 :: v_dual_mul_f32 v5, s26, v5
	s_and_not1_b32 vcc_lo, exec_lo, s2
	s_delay_alu instid0(VALU_DEP_2) | instskip(NEXT) | instid1(VALU_DEP_2)
	v_max3_f32 v7, v9, |v8|, |v7|
	v_fmac_f32_e32 v6, v77, v3
	s_delay_alu instid0(VALU_DEP_3) | instskip(NEXT) | instid1(VALU_DEP_1)
	v_fmac_f32_e32 v5, v77, v4
	v_max3_f32 v78, v7, |v6|, |v5|
	s_cbranch_vccnz .LBB79_72
.LBB79_8:                               ; =>This Inner Loop Header: Depth=1
	s_delay_alu instid0(VALU_DEP_1)
	v_lshlrev_b64 v[3:4], 2, v[1:2]
	s_min_u32 s24, s19, 0x1000
	s_mov_b32 s37, s36
	s_mov_b32 s38, s36
	;; [unrolled: 1-line block ×4, first 2 shown]
	v_add_co_u32 v19, vcc_lo, v35, v3
	s_mov_b32 s41, s36
	s_mov_b32 s42, s36
	;; [unrolled: 1-line block ×11, first 2 shown]
	v_add_co_ci_u32_e32 v20, vcc_lo, v36, v4, vcc_lo
	v_dual_mov_b32 v3, s36 :: v_dual_mov_b32 v4, s37
	v_cmp_gt_u32_e64 s16, s24, v23
	v_dual_mov_b32 v5, s38 :: v_dual_mov_b32 v6, s39
	v_dual_mov_b32 v7, s40 :: v_dual_mov_b32 v8, s41
	;; [unrolled: 1-line block ×7, first 2 shown]
	v_mov_b32_e32 v79, 0
	s_barrier
	buffer_gl0_inv
	s_and_saveexec_b32 s2, s16
	s_cbranch_execnz .LBB79_41
; %bb.9:                                ;   in Loop: Header=BB79_8 Depth=1
	s_or_b32 exec_lo, exec_lo, s2
	v_cmp_gt_u32_e64 s15, s24, v24
	s_delay_alu instid0(VALU_DEP_1)
	s_and_saveexec_b32 s2, s15
	s_cbranch_execnz .LBB79_42
.LBB79_10:                              ;   in Loop: Header=BB79_8 Depth=1
	s_or_b32 exec_lo, exec_lo, s2
	v_cmp_gt_u32_e64 s14, s24, v25
	s_delay_alu instid0(VALU_DEP_1)
	s_and_saveexec_b32 s2, s14
	s_cbranch_execnz .LBB79_43
.LBB79_11:                              ;   in Loop: Header=BB79_8 Depth=1
	s_or_b32 exec_lo, exec_lo, s2
	v_cmp_gt_u32_e64 s13, s24, v26
	s_delay_alu instid0(VALU_DEP_1)
	s_and_saveexec_b32 s2, s13
	s_cbranch_execnz .LBB79_44
.LBB79_12:                              ;   in Loop: Header=BB79_8 Depth=1
	s_or_b32 exec_lo, exec_lo, s2
	v_cmp_gt_u32_e64 s12, s24, v27
	s_delay_alu instid0(VALU_DEP_1)
	s_and_saveexec_b32 s2, s12
	s_cbranch_execnz .LBB79_45
.LBB79_13:                              ;   in Loop: Header=BB79_8 Depth=1
	s_or_b32 exec_lo, exec_lo, s2
	v_cmp_gt_u32_e64 s11, s24, v28
	s_delay_alu instid0(VALU_DEP_1)
	s_and_saveexec_b32 s2, s11
	s_cbranch_execnz .LBB79_46
.LBB79_14:                              ;   in Loop: Header=BB79_8 Depth=1
	s_or_b32 exec_lo, exec_lo, s2
	v_cmp_gt_u32_e64 s10, s24, v29
	s_delay_alu instid0(VALU_DEP_1)
	s_and_saveexec_b32 s2, s10
	s_cbranch_execnz .LBB79_47
.LBB79_15:                              ;   in Loop: Header=BB79_8 Depth=1
	s_or_b32 exec_lo, exec_lo, s2
	v_cmp_gt_u32_e64 s9, s24, v30
	s_delay_alu instid0(VALU_DEP_1)
	s_and_saveexec_b32 s2, s9
	s_cbranch_execnz .LBB79_48
.LBB79_16:                              ;   in Loop: Header=BB79_8 Depth=1
	s_or_b32 exec_lo, exec_lo, s2
	v_cmp_gt_u32_e64 s8, s24, v31
	s_delay_alu instid0(VALU_DEP_1)
	s_and_saveexec_b32 s2, s8
	s_cbranch_execnz .LBB79_49
.LBB79_17:                              ;   in Loop: Header=BB79_8 Depth=1
	s_or_b32 exec_lo, exec_lo, s2
	v_cmp_gt_u32_e64 s7, s24, v32
	s_delay_alu instid0(VALU_DEP_1)
	s_and_saveexec_b32 s2, s7
	s_cbranch_execnz .LBB79_50
.LBB79_18:                              ;   in Loop: Header=BB79_8 Depth=1
	s_or_b32 exec_lo, exec_lo, s2
	v_cmp_gt_u32_e64 s6, s24, v33
	s_delay_alu instid0(VALU_DEP_1)
	s_and_saveexec_b32 s2, s6
	s_cbranch_execnz .LBB79_51
.LBB79_19:                              ;   in Loop: Header=BB79_8 Depth=1
	s_or_b32 exec_lo, exec_lo, s2
	v_cmp_gt_u32_e64 s5, s24, v34
	s_delay_alu instid0(VALU_DEP_1)
	s_and_saveexec_b32 s2, s5
	s_cbranch_execnz .LBB79_52
.LBB79_20:                              ;   in Loop: Header=BB79_8 Depth=1
	s_or_b32 exec_lo, exec_lo, s2
	v_cmp_gt_u32_e64 s4, s24, v37
	s_delay_alu instid0(VALU_DEP_1)
	s_and_saveexec_b32 s2, s4
	s_cbranch_execnz .LBB79_53
.LBB79_21:                              ;   in Loop: Header=BB79_8 Depth=1
	s_or_b32 exec_lo, exec_lo, s2
	v_cmp_gt_u32_e64 s3, s24, v38
	s_delay_alu instid0(VALU_DEP_1)
	s_and_saveexec_b32 s2, s3
	s_cbranch_execnz .LBB79_54
.LBB79_22:                              ;   in Loop: Header=BB79_8 Depth=1
	s_or_b32 exec_lo, exec_lo, s2
	v_cmp_gt_u32_e64 s2, s24, v39
	s_delay_alu instid0(VALU_DEP_1)
	s_and_saveexec_b32 s17, s2
	s_cbranch_execnz .LBB79_55
.LBB79_23:                              ;   in Loop: Header=BB79_8 Depth=1
	s_or_b32 exec_lo, exec_lo, s17
	v_cmp_gt_u32_e32 vcc_lo, s24, v40
	s_and_saveexec_b32 s17, vcc_lo
	s_cbranch_execz .LBB79_25
.LBB79_24:                              ;   in Loop: Header=BB79_8 Depth=1
	global_load_b32 v18, v[19:20], off offset:1920
.LBB79_25:                              ;   in Loop: Header=BB79_8 Depth=1
	s_or_b32 exec_lo, exec_lo, s17
	s_waitcnt vmcnt(0)
	ds_store_b32 v42, v79
	ds_store_b32 v43, v4
	;; [unrolled: 1-line block ×16, first 2 shown]
	; wave barrier
	ds_load_2addr_b32 v[17:18], v61 offset1:1
	ds_load_2addr_b32 v[15:16], v61 offset0:2 offset1:3
	ds_load_2addr_b32 v[13:14], v61 offset0:4 offset1:5
	;; [unrolled: 1-line block ×7, first 2 shown]
	v_add_co_u32 v19, s17, v62, v1
	s_delay_alu instid0(VALU_DEP_1)
	v_add_co_ci_u32_e64 v20, s17, 0, v63, s17
	v_dual_mov_b32 v79, 0x80 :: v_dual_mov_b32 v80, 0x80
	v_dual_mov_b32 v81, 0x80 :: v_dual_mov_b32 v82, 0x80
	;; [unrolled: 1-line block ×7, first 2 shown]
	v_mov_b32_e32 v93, 0x80
	s_waitcnt lgkmcnt(0)
	s_barrier
	buffer_gl0_inv
	s_and_saveexec_b32 s17, s16
	s_cbranch_execnz .LBB79_56
; %bb.26:                               ;   in Loop: Header=BB79_8 Depth=1
	s_or_b32 exec_lo, exec_lo, s17
	v_mov_b32_e32 v94, v79
	s_and_saveexec_b32 s16, s15
	s_cbranch_execnz .LBB79_57
.LBB79_27:                              ;   in Loop: Header=BB79_8 Depth=1
	s_or_b32 exec_lo, exec_lo, s16
	s_and_saveexec_b32 s15, s14
	s_cbranch_execnz .LBB79_58
.LBB79_28:                              ;   in Loop: Header=BB79_8 Depth=1
	s_or_b32 exec_lo, exec_lo, s15
	s_and_saveexec_b32 s14, s13
	s_cbranch_execnz .LBB79_59
.LBB79_29:                              ;   in Loop: Header=BB79_8 Depth=1
	s_or_b32 exec_lo, exec_lo, s14
	s_and_saveexec_b32 s13, s12
	s_cbranch_execnz .LBB79_60
.LBB79_30:                              ;   in Loop: Header=BB79_8 Depth=1
	s_or_b32 exec_lo, exec_lo, s13
	s_and_saveexec_b32 s12, s11
	s_cbranch_execnz .LBB79_61
.LBB79_31:                              ;   in Loop: Header=BB79_8 Depth=1
	s_or_b32 exec_lo, exec_lo, s12
	s_and_saveexec_b32 s11, s10
	s_cbranch_execnz .LBB79_62
.LBB79_32:                              ;   in Loop: Header=BB79_8 Depth=1
	s_or_b32 exec_lo, exec_lo, s11
	s_and_saveexec_b32 s10, s9
	s_cbranch_execnz .LBB79_63
.LBB79_33:                              ;   in Loop: Header=BB79_8 Depth=1
	s_or_b32 exec_lo, exec_lo, s10
	s_and_saveexec_b32 s9, s8
	s_cbranch_execnz .LBB79_64
.LBB79_34:                              ;   in Loop: Header=BB79_8 Depth=1
	s_or_b32 exec_lo, exec_lo, s9
	s_and_saveexec_b32 s8, s7
	s_cbranch_execnz .LBB79_65
.LBB79_35:                              ;   in Loop: Header=BB79_8 Depth=1
	s_or_b32 exec_lo, exec_lo, s8
	s_and_saveexec_b32 s7, s6
	s_cbranch_execnz .LBB79_66
.LBB79_36:                              ;   in Loop: Header=BB79_8 Depth=1
	s_or_b32 exec_lo, exec_lo, s7
	s_and_saveexec_b32 s6, s5
	s_cbranch_execnz .LBB79_67
.LBB79_37:                              ;   in Loop: Header=BB79_8 Depth=1
	s_or_b32 exec_lo, exec_lo, s6
	s_and_saveexec_b32 s5, s4
	s_cbranch_execnz .LBB79_68
.LBB79_38:                              ;   in Loop: Header=BB79_8 Depth=1
	s_or_b32 exec_lo, exec_lo, s5
	s_and_saveexec_b32 s4, s3
	s_cbranch_execnz .LBB79_69
.LBB79_39:                              ;   in Loop: Header=BB79_8 Depth=1
	s_or_b32 exec_lo, exec_lo, s4
	s_and_saveexec_b32 s3, s2
	s_cbranch_execnz .LBB79_70
.LBB79_40:                              ;   in Loop: Header=BB79_8 Depth=1
	s_or_b32 exec_lo, exec_lo, s3
	s_and_saveexec_b32 s2, vcc_lo
	s_cbranch_execz .LBB79_7
	s_branch .LBB79_71
.LBB79_41:                              ;   in Loop: Header=BB79_8 Depth=1
	global_load_b32 v79, v[19:20], off
	v_mov_b32_e32 v16, v2
	v_mov_b32_e32 v3, v2
	;; [unrolled: 1-line block ×15, first 2 shown]
	s_delay_alu instid0(VALU_DEP_2)
	v_dual_mov_b32 v17, v15 :: v_dual_mov_b32 v16, v14
	v_mov_b32_e32 v15, v13
	v_mov_b32_e32 v14, v12
	;; [unrolled: 1-line block ×13, first 2 shown]
	s_or_b32 exec_lo, exec_lo, s2
	v_cmp_gt_u32_e64 s15, s24, v24
	s_delay_alu instid0(VALU_DEP_1)
	s_and_saveexec_b32 s2, s15
	s_cbranch_execz .LBB79_10
.LBB79_42:                              ;   in Loop: Header=BB79_8 Depth=1
	global_load_b32 v4, v[19:20], off offset:128
	s_or_b32 exec_lo, exec_lo, s2
	v_cmp_gt_u32_e64 s14, s24, v25
	s_delay_alu instid0(VALU_DEP_1)
	s_and_saveexec_b32 s2, s14
	s_cbranch_execz .LBB79_11
.LBB79_43:                              ;   in Loop: Header=BB79_8 Depth=1
	global_load_b32 v5, v[19:20], off offset:256
	s_or_b32 exec_lo, exec_lo, s2
	v_cmp_gt_u32_e64 s13, s24, v26
	s_delay_alu instid0(VALU_DEP_1)
	s_and_saveexec_b32 s2, s13
	s_cbranch_execz .LBB79_12
.LBB79_44:                              ;   in Loop: Header=BB79_8 Depth=1
	global_load_b32 v6, v[19:20], off offset:384
	s_or_b32 exec_lo, exec_lo, s2
	v_cmp_gt_u32_e64 s12, s24, v27
	s_delay_alu instid0(VALU_DEP_1)
	s_and_saveexec_b32 s2, s12
	s_cbranch_execz .LBB79_13
.LBB79_45:                              ;   in Loop: Header=BB79_8 Depth=1
	global_load_b32 v7, v[19:20], off offset:512
	s_or_b32 exec_lo, exec_lo, s2
	v_cmp_gt_u32_e64 s11, s24, v28
	s_delay_alu instid0(VALU_DEP_1)
	s_and_saveexec_b32 s2, s11
	s_cbranch_execz .LBB79_14
.LBB79_46:                              ;   in Loop: Header=BB79_8 Depth=1
	global_load_b32 v8, v[19:20], off offset:640
	s_or_b32 exec_lo, exec_lo, s2
	v_cmp_gt_u32_e64 s10, s24, v29
	s_delay_alu instid0(VALU_DEP_1)
	s_and_saveexec_b32 s2, s10
	s_cbranch_execz .LBB79_15
.LBB79_47:                              ;   in Loop: Header=BB79_8 Depth=1
	global_load_b32 v9, v[19:20], off offset:768
	s_or_b32 exec_lo, exec_lo, s2
	v_cmp_gt_u32_e64 s9, s24, v30
	s_delay_alu instid0(VALU_DEP_1)
	s_and_saveexec_b32 s2, s9
	s_cbranch_execz .LBB79_16
.LBB79_48:                              ;   in Loop: Header=BB79_8 Depth=1
	global_load_b32 v10, v[19:20], off offset:896
	s_or_b32 exec_lo, exec_lo, s2
	v_cmp_gt_u32_e64 s8, s24, v31
	s_delay_alu instid0(VALU_DEP_1)
	s_and_saveexec_b32 s2, s8
	s_cbranch_execz .LBB79_17
.LBB79_49:                              ;   in Loop: Header=BB79_8 Depth=1
	global_load_b32 v11, v[19:20], off offset:1024
	s_or_b32 exec_lo, exec_lo, s2
	v_cmp_gt_u32_e64 s7, s24, v32
	s_delay_alu instid0(VALU_DEP_1)
	s_and_saveexec_b32 s2, s7
	s_cbranch_execz .LBB79_18
.LBB79_50:                              ;   in Loop: Header=BB79_8 Depth=1
	global_load_b32 v12, v[19:20], off offset:1152
	s_or_b32 exec_lo, exec_lo, s2
	v_cmp_gt_u32_e64 s6, s24, v33
	s_delay_alu instid0(VALU_DEP_1)
	s_and_saveexec_b32 s2, s6
	s_cbranch_execz .LBB79_19
.LBB79_51:                              ;   in Loop: Header=BB79_8 Depth=1
	global_load_b32 v13, v[19:20], off offset:1280
	s_or_b32 exec_lo, exec_lo, s2
	v_cmp_gt_u32_e64 s5, s24, v34
	s_delay_alu instid0(VALU_DEP_1)
	s_and_saveexec_b32 s2, s5
	s_cbranch_execz .LBB79_20
.LBB79_52:                              ;   in Loop: Header=BB79_8 Depth=1
	global_load_b32 v14, v[19:20], off offset:1408
	s_or_b32 exec_lo, exec_lo, s2
	v_cmp_gt_u32_e64 s4, s24, v37
	s_delay_alu instid0(VALU_DEP_1)
	s_and_saveexec_b32 s2, s4
	s_cbranch_execz .LBB79_21
.LBB79_53:                              ;   in Loop: Header=BB79_8 Depth=1
	global_load_b32 v15, v[19:20], off offset:1536
	s_or_b32 exec_lo, exec_lo, s2
	v_cmp_gt_u32_e64 s3, s24, v38
	s_delay_alu instid0(VALU_DEP_1)
	s_and_saveexec_b32 s2, s3
	s_cbranch_execz .LBB79_22
.LBB79_54:                              ;   in Loop: Header=BB79_8 Depth=1
	global_load_b32 v16, v[19:20], off offset:1664
	s_or_b32 exec_lo, exec_lo, s2
	v_cmp_gt_u32_e64 s2, s24, v39
	s_delay_alu instid0(VALU_DEP_1)
	s_and_saveexec_b32 s17, s2
	s_cbranch_execz .LBB79_23
.LBB79_55:                              ;   in Loop: Header=BB79_8 Depth=1
	global_load_b32 v17, v[19:20], off offset:1792
	s_or_b32 exec_lo, exec_lo, s17
	v_cmp_gt_u32_e32 vcc_lo, s24, v40
	s_and_saveexec_b32 s17, vcc_lo
	s_cbranch_execnz .LBB79_24
	s_branch .LBB79_25
.LBB79_56:                              ;   in Loop: Header=BB79_8 Depth=1
	global_load_u8 v80, v[19:20], off
	v_dual_mov_b32 v79, 0x80 :: v_dual_mov_b32 v82, 0x80
	v_dual_mov_b32 v81, 0x80 :: v_dual_mov_b32 v84, 0x80
	v_dual_mov_b32 v83, 0x80 :: v_dual_mov_b32 v86, 0x80
	v_dual_mov_b32 v85, 0x80 :: v_dual_mov_b32 v88, 0x80
	v_dual_mov_b32 v87, 0x80 :: v_dual_mov_b32 v90, 0x80
	v_dual_mov_b32 v89, 0x80 :: v_dual_mov_b32 v92, 0x80
	v_mov_b32_e32 v91, 0x80
	v_mov_b32_e32 v93, 0x80
	s_or_b32 exec_lo, exec_lo, s17
	v_mov_b32_e32 v94, v79
	s_and_saveexec_b32 s16, s15
	s_cbranch_execz .LBB79_27
.LBB79_57:                              ;   in Loop: Header=BB79_8 Depth=1
	global_load_u8 v94, v[19:20], off offset:32
	s_or_b32 exec_lo, exec_lo, s16
	s_and_saveexec_b32 s15, s14
	s_cbranch_execz .LBB79_28
.LBB79_58:                              ;   in Loop: Header=BB79_8 Depth=1
	global_load_u8 v79, v[19:20], off offset:64
	s_or_b32 exec_lo, exec_lo, s15
	s_and_saveexec_b32 s14, s13
	s_cbranch_execz .LBB79_29
.LBB79_59:                              ;   in Loop: Header=BB79_8 Depth=1
	global_load_u8 v81, v[19:20], off offset:96
	s_or_b32 exec_lo, exec_lo, s14
	s_and_saveexec_b32 s13, s12
	s_cbranch_execz .LBB79_30
.LBB79_60:                              ;   in Loop: Header=BB79_8 Depth=1
	global_load_u8 v82, v[19:20], off offset:128
	s_or_b32 exec_lo, exec_lo, s13
	s_and_saveexec_b32 s12, s11
	s_cbranch_execz .LBB79_31
.LBB79_61:                              ;   in Loop: Header=BB79_8 Depth=1
	global_load_u8 v83, v[19:20], off offset:160
	s_or_b32 exec_lo, exec_lo, s12
	s_and_saveexec_b32 s11, s10
	s_cbranch_execz .LBB79_32
.LBB79_62:                              ;   in Loop: Header=BB79_8 Depth=1
	global_load_u8 v84, v[19:20], off offset:192
	s_or_b32 exec_lo, exec_lo, s11
	s_and_saveexec_b32 s10, s9
	s_cbranch_execz .LBB79_33
.LBB79_63:                              ;   in Loop: Header=BB79_8 Depth=1
	global_load_u8 v85, v[19:20], off offset:224
	s_or_b32 exec_lo, exec_lo, s10
	s_and_saveexec_b32 s9, s8
	s_cbranch_execz .LBB79_34
.LBB79_64:                              ;   in Loop: Header=BB79_8 Depth=1
	global_load_u8 v86, v[19:20], off offset:256
	s_or_b32 exec_lo, exec_lo, s9
	s_and_saveexec_b32 s8, s7
	s_cbranch_execz .LBB79_35
.LBB79_65:                              ;   in Loop: Header=BB79_8 Depth=1
	global_load_u8 v87, v[19:20], off offset:288
	s_or_b32 exec_lo, exec_lo, s8
	s_and_saveexec_b32 s7, s6
	s_cbranch_execz .LBB79_36
.LBB79_66:                              ;   in Loop: Header=BB79_8 Depth=1
	global_load_u8 v88, v[19:20], off offset:320
	s_or_b32 exec_lo, exec_lo, s7
	s_and_saveexec_b32 s6, s5
	s_cbranch_execz .LBB79_37
.LBB79_67:                              ;   in Loop: Header=BB79_8 Depth=1
	global_load_u8 v89, v[19:20], off offset:352
	s_or_b32 exec_lo, exec_lo, s6
	s_and_saveexec_b32 s5, s4
	s_cbranch_execz .LBB79_38
.LBB79_68:                              ;   in Loop: Header=BB79_8 Depth=1
	global_load_u8 v90, v[19:20], off offset:384
	s_or_b32 exec_lo, exec_lo, s5
	s_and_saveexec_b32 s4, s3
	s_cbranch_execz .LBB79_39
.LBB79_69:                              ;   in Loop: Header=BB79_8 Depth=1
	global_load_u8 v91, v[19:20], off offset:416
	s_or_b32 exec_lo, exec_lo, s4
	s_and_saveexec_b32 s3, s2
	s_cbranch_execz .LBB79_40
.LBB79_70:                              ;   in Loop: Header=BB79_8 Depth=1
	global_load_u8 v92, v[19:20], off offset:448
	s_or_b32 exec_lo, exec_lo, s3
	s_and_saveexec_b32 s2, vcc_lo
	s_cbranch_execz .LBB79_7
.LBB79_71:                              ;   in Loop: Header=BB79_8 Depth=1
	global_load_u8 v93, v[19:20], off offset:480
	s_branch .LBB79_7
.LBB79_72:
	v_mov_b32_e32 v1, v22
.LBB79_73:
	s_delay_alu instid0(VALU_DEP_2) | instskip(NEXT) | instid1(VALU_DEP_2)
	v_cmp_ne_u32_e32 vcc_lo, 31, v21
	v_sub_nc_u32_e64 v1, s24, v1 clamp
	v_cmp_gt_u32_e64 s2, 28, v21
	v_cmp_gt_u32_e64 s3, 24, v21
	;; [unrolled: 1-line block ×3, first 2 shown]
	v_add_co_ci_u32_e32 v2, vcc_lo, 0, v21, vcc_lo
	v_cmp_gt_u32_e32 vcc_lo, 30, v21
	v_cndmask_b32_e64 v6, 0, 1, s2
	s_waitcnt lgkmcnt(0)
	s_delay_alu instid0(VALU_DEP_3)
	v_lshlrev_b32_e32 v3, 2, v2
	s_barrier
	v_cndmask_b32_e64 v4, 0, 1, vcc_lo
	v_lshlrev_b32_e32 v6, 2, v6
	buffer_gl0_inv
	ds_bpermute_b32 v2, v3, v78
	v_add_nc_u32_e32 v7, 2, v21
	v_lshlrev_b32_e32 v4, 1, v4
	s_delay_alu instid0(VALU_DEP_1) | instskip(SKIP_3) | instid1(VALU_DEP_1)
	v_add_lshl_u32 v4, v4, v21, 2
	s_waitcnt lgkmcnt(0)
	v_cmp_lt_f32_e32 vcc_lo, v78, v2
	v_dual_cndmask_b32 v2, v78, v2 :: v_dual_add_nc_u32 v5, 1, v21
	v_cmp_lt_u32_e32 vcc_lo, v5, v1
	s_delay_alu instid0(VALU_DEP_2) | instskip(SKIP_3) | instid1(VALU_DEP_1)
	v_cndmask_b32_e32 v2, v78, v2, vcc_lo
	ds_bpermute_b32 v5, v4, v2
	s_waitcnt lgkmcnt(0)
	v_cmp_lt_f32_e64 s2, v2, v5
	v_cndmask_b32_e64 v8, v2, v5, s2
	v_cmp_lt_u32_e64 s2, v7, v1
	v_add_lshl_u32 v5, v6, v21, 2
	v_cndmask_b32_e64 v7, 0, 1, s3
	s_delay_alu instid0(VALU_DEP_3) | instskip(SKIP_1) | instid1(VALU_DEP_3)
	v_cndmask_b32_e64 v2, v2, v8, s2
	v_add_nc_u32_e32 v8, 4, v21
	v_lshlrev_b32_e32 v7, 3, v7
	s_or_b32 s7, vcc_lo, s2
	ds_bpermute_b32 v6, v5, v2
	s_waitcnt lgkmcnt(0)
	v_cmp_lt_f32_e64 s3, v2, v6
	s_delay_alu instid0(VALU_DEP_1) | instskip(SKIP_3) | instid1(VALU_DEP_3)
	v_cndmask_b32_e64 v9, v2, v6, s3
	v_cmp_lt_u32_e64 s3, v8, v1
	v_add_lshl_u32 v6, v7, v21, 2
	v_cndmask_b32_e64 v8, 0, 1, s4
	v_cndmask_b32_e64 v2, v2, v9, s3
	v_add_nc_u32_e32 v9, 8, v21
	s_delay_alu instid0(VALU_DEP_3) | instskip(SKIP_4) | instid1(VALU_DEP_1)
	v_lshlrev_b32_e32 v8, 4, v8
	s_or_b32 s7, s3, s7
	ds_bpermute_b32 v7, v6, v2
	s_waitcnt lgkmcnt(0)
	v_cmp_lt_f32_e64 s4, v2, v7
	v_cndmask_b32_e64 v10, v2, v7, s4
	v_cmp_lt_u32_e64 s4, v9, v1
	v_add_lshl_u32 v7, v8, v21, 2
	v_add_nc_u32_e32 v9, 16, v21
	s_delay_alu instid0(VALU_DEP_3) | instskip(NEXT) | instid1(VALU_DEP_2)
	v_cndmask_b32_e64 v2, v2, v10, s4
	v_cmp_lt_u32_e64 s5, v9, v1
	ds_bpermute_b32 v8, v7, v2
	s_waitcnt lgkmcnt(0)
	v_cmp_lt_f32_e64 s6, v2, v8
	s_delay_alu instid0(VALU_DEP_1) | instskip(NEXT) | instid1(SALU_CYCLE_1)
	s_and_b32 s6, s5, s6
	v_cndmask_b32_e64 v1, v2, v8, s6
	s_or_b32 s6, s4, s7
	s_delay_alu instid0(SALU_CYCLE_1)
	s_or_b32 s6, s5, s6
	s_delay_alu instid0(VALU_DEP_1) | instid1(SALU_CYCLE_1)
	v_cndmask_b32_e64 v1, v78, v1, s6
	v_cmp_eq_u32_e64 s6, 0, v21
	s_delay_alu instid0(VALU_DEP_1)
	s_and_saveexec_b32 s7, s6
	s_cbranch_execz .LBB79_75
; %bb.74:
	v_lshrrev_b32_e32 v2, 3, v0
	s_delay_alu instid0(VALU_DEP_1)
	v_and_b32_e32 v2, 28, v2
	ds_store_b32 v2, v1
.LBB79_75:
	s_or_b32 exec_lo, exec_lo, s7
	v_cmp_gt_u32_e64 s7, 8, v0
	s_waitcnt lgkmcnt(0)
	s_barrier
	buffer_gl0_inv
	s_and_saveexec_b32 s11, s7
	s_cbranch_execz .LBB79_77
; %bb.76:
	v_lshlrev_b32_e32 v1, 2, v21
	v_and_b32_e32 v2, 7, v21
	s_add_i32 s9, s24, 31
	s_delay_alu instid0(SALU_CYCLE_1)
	s_lshr_b32 s10, s9, 5
	ds_load_b32 v1, v1
	v_cmp_ne_u32_e64 s8, 7, v2
	v_add_nc_u32_e32 v10, 1, v2
	v_cmp_gt_u32_e64 s9, 4, v2
	v_add_nc_u32_e32 v12, 2, v2
	s_delay_alu instid0(VALU_DEP_4) | instskip(SKIP_1) | instid1(VALU_DEP_4)
	v_add_co_ci_u32_e64 v8, s8, 0, v21, s8
	v_cmp_gt_u32_e64 s8, 6, v2
	v_cndmask_b32_e64 v11, 0, 1, s9
	v_add_nc_u32_e32 v2, 4, v2
	s_delay_alu instid0(VALU_DEP_4) | instskip(NEXT) | instid1(VALU_DEP_4)
	v_lshlrev_b32_e32 v8, 2, v8
	v_cndmask_b32_e64 v9, 0, 1, s8
	s_delay_alu instid0(VALU_DEP_4) | instskip(NEXT) | instid1(VALU_DEP_2)
	v_lshlrev_b32_e32 v11, 2, v11
	v_lshlrev_b32_e32 v9, 1, v9
	s_delay_alu instid0(VALU_DEP_2)
	v_add_lshl_u32 v11, v11, v21, 2
	s_waitcnt lgkmcnt(0)
	ds_bpermute_b32 v8, v8, v1
	v_add_lshl_u32 v9, v9, v21, 2
	s_waitcnt lgkmcnt(0)
	v_cmp_lt_f32_e64 s8, v1, v8
	s_delay_alu instid0(VALU_DEP_1) | instskip(SKIP_1) | instid1(VALU_DEP_1)
	v_cndmask_b32_e64 v8, v1, v8, s8
	v_cmp_gt_u32_e64 s8, s10, v10
	v_cndmask_b32_e64 v10, v1, v8, s8
	ds_bpermute_b32 v9, v9, v10
	s_waitcnt lgkmcnt(0)
	v_cmp_lt_f32_e64 s9, v10, v9
	s_delay_alu instid0(VALU_DEP_1) | instskip(SKIP_1) | instid1(VALU_DEP_1)
	v_cndmask_b32_e64 v9, v10, v9, s9
	v_cmp_gt_u32_e64 s9, s10, v12
	v_cndmask_b32_e64 v10, v10, v9, s9
	v_cndmask_b32_e64 v8, v8, v9, s9
	v_cmp_gt_u32_e64 s9, s10, v2
	ds_bpermute_b32 v10, v11, v10
	s_waitcnt lgkmcnt(0)
	v_cmp_lt_f32_e64 s10, v8, v10
	s_delay_alu instid0(VALU_DEP_1) | instskip(NEXT) | instid1(SALU_CYCLE_1)
	s_and_b32 s9, s9, s10
	v_cndmask_b32_e64 v2, v8, v10, s9
	s_delay_alu instid0(VALU_DEP_1)
	v_cndmask_b32_e64 v1, v1, v2, s8
.LBB79_77:
	s_or_b32 exec_lo, exec_lo, s11
	v_cmp_eq_u32_e64 s8, 0, v0
	s_mov_b32 s12, 0
	s_delay_alu instid0(VALU_DEP_1)
	s_and_saveexec_b32 s11, s8
	s_cbranch_execz .LBB79_82
; %bb.78:
	v_mov_b32_e32 v8, 0
	v_cmp_eq_f32_e64 s9, 0, v1
                                        ; implicit-def: $sgpr13
                                        ; implicit-def: $sgpr14
	global_load_b32 v2, v8, s[22:23] glc
	s_waitcnt vmcnt(0)
	v_cmp_eq_u32_e64 s15, 0x80000000, v2
	s_set_inst_prefetch_distance 0x1
	s_branch .LBB79_80
	.p2align	6
.LBB79_79:                              ;   in Loop: Header=BB79_80 Depth=1
	s_or_b32 exec_lo, exec_lo, s16
	s_delay_alu instid0(SALU_CYCLE_1) | instskip(NEXT) | instid1(SALU_CYCLE_1)
	s_and_b32 s10, exec_lo, s13
	s_or_b32 s12, s10, s12
	s_and_not1_b32 s10, s15, exec_lo
	s_and_b32 s15, s14, exec_lo
	s_delay_alu instid0(SALU_CYCLE_1)
	s_or_b32 s15, s10, s15
	s_and_not1_b32 exec_lo, exec_lo, s12
	s_cbranch_execz .LBB79_82
.LBB79_80:                              ; =>This Inner Loop Header: Depth=1
	v_cmp_lt_f32_e64 s10, v2, v1
	s_delay_alu instid0(VALU_DEP_2) | instskip(SKIP_2) | instid1(VALU_DEP_1)
	s_and_b32 s16, s9, s15
	s_and_not1_b32 s14, s14, exec_lo
	s_or_b32 s13, s13, exec_lo
	s_or_b32 s10, s10, s16
	s_delay_alu instid0(SALU_CYCLE_1)
	s_and_saveexec_b32 s16, s10
	s_cbranch_execz .LBB79_79
; %bb.81:                               ;   in Loop: Header=BB79_80 Depth=1
	global_atomic_cmpswap_b32 v9, v8, v[1:2], s[22:23] glc
	s_and_not1_b32 s14, s14, exec_lo
	s_and_not1_b32 s13, s13, exec_lo
	s_waitcnt vmcnt(0)
	v_cmp_eq_u32_e64 s10, v9, v2
	s_delay_alu instid0(VALU_DEP_1) | instskip(SKIP_1) | instid1(SALU_CYCLE_1)
	v_cndmask_b32_e64 v2, v9, v2, s10
	s_and_b32 s10, s10, exec_lo
	s_or_b32 s13, s13, s10
	s_delay_alu instid0(VALU_DEP_1) | instskip(SKIP_1) | instid1(VALU_DEP_2)
	v_cmp_class_f32_e64 s15, v2, 32
	v_mov_b32_e32 v2, v9
	s_and_b32 s15, s15, exec_lo
	s_delay_alu instid0(SALU_CYCLE_1)
	s_or_b32 s14, s14, s15
                                        ; implicit-def: $sgpr15
	s_branch .LBB79_79
.LBB79_82:
	s_set_inst_prefetch_distance 0x2
	s_or_b32 exec_lo, exec_lo, s11
	s_load_b64 s[10:11], s[0:1], 0x18
	s_waitcnt lgkmcnt(0)
	s_cmp_eq_u64 s[10:11], 0
	s_cbranch_scc1 .LBB79_93
; %bb.83:
	v_mov_b32_e32 v1, 0
	s_barrier
	buffer_gl0_inv
	ds_bpermute_b32 v1, v3, v1
	s_waitcnt lgkmcnt(0)
	v_add_f32_e32 v1, 0, v1
	s_delay_alu instid0(VALU_DEP_1) | instskip(SKIP_3) | instid1(VALU_DEP_1)
	v_cndmask_b32_e32 v1, 0, v1, vcc_lo
	ds_bpermute_b32 v2, v4, v1
	s_waitcnt lgkmcnt(0)
	v_add_f32_e32 v2, v1, v2
	v_cndmask_b32_e64 v1, v1, v2, s2
	ds_bpermute_b32 v2, v5, v1
	s_waitcnt lgkmcnt(0)
	v_add_f32_e32 v2, v1, v2
	s_delay_alu instid0(VALU_DEP_1) | instskip(SKIP_3) | instid1(VALU_DEP_1)
	v_cndmask_b32_e64 v1, v1, v2, s3
	ds_bpermute_b32 v2, v6, v1
	s_waitcnt lgkmcnt(0)
	v_add_f32_e32 v2, v1, v2
	v_cndmask_b32_e64 v1, v1, v2, s4
	ds_bpermute_b32 v2, v7, v1
	s_waitcnt lgkmcnt(0)
	v_add_f32_e32 v2, v1, v2
	s_delay_alu instid0(VALU_DEP_1)
	v_cndmask_b32_e64 v1, v1, v2, s5
	s_and_saveexec_b32 s0, s6
	s_cbranch_execz .LBB79_85
; %bb.84:
	v_lshrrev_b32_e32 v0, 3, v0
	s_delay_alu instid0(VALU_DEP_1)
	v_and_b32_e32 v0, 28, v0
	ds_store_b32 v0, v1
.LBB79_85:
	s_or_b32 exec_lo, exec_lo, s0
	s_waitcnt lgkmcnt(0)
	s_barrier
	buffer_gl0_inv
	s_and_saveexec_b32 s1, s7
	s_cbranch_execz .LBB79_87
; %bb.86:
	v_lshlrev_b32_e32 v0, 2, v21
	s_add_i32 s24, s24, 31
	s_delay_alu instid0(SALU_CYCLE_1) | instskip(SKIP_2) | instid1(VALU_DEP_1)
	s_lshr_b32 s2, s24, 5
	ds_load_b32 v0, v0
	v_and_b32_e32 v1, 7, v21
	v_cmp_ne_u32_e32 vcc_lo, 7, v1
	v_add_co_ci_u32_e32 v2, vcc_lo, 0, v21, vcc_lo
	s_delay_alu instid0(VALU_DEP_1)
	v_lshlrev_b32_e32 v2, 2, v2
	s_waitcnt lgkmcnt(0)
	ds_bpermute_b32 v2, v2, v0
	s_waitcnt lgkmcnt(0)
	v_add_f32_e32 v2, v0, v2
	v_cmp_gt_u32_e32 vcc_lo, 6, v1
	v_add_nc_u32_e32 v4, 1, v1
	v_cmp_gt_u32_e64 s0, 4, v1
	v_add_nc_u32_e32 v5, 2, v1
	v_add_nc_u32_e32 v1, 4, v1
	v_cndmask_b32_e64 v3, 0, 1, vcc_lo
	v_cmp_gt_u32_e32 vcc_lo, s2, v4
	v_cndmask_b32_e64 v4, 0, 1, s0
	v_cmp_gt_u32_e64 s0, s2, v5
	s_delay_alu instid0(VALU_DEP_4) | instskip(NEXT) | instid1(VALU_DEP_3)
	v_dual_cndmask_b32 v2, v0, v2 :: v_dual_lshlrev_b32 v3, 1, v3
	v_lshlrev_b32_e32 v4, 2, v4
	s_delay_alu instid0(VALU_DEP_2) | instskip(SKIP_3) | instid1(VALU_DEP_1)
	v_add_lshl_u32 v3, v3, v21, 2
	ds_bpermute_b32 v3, v3, v2
	s_waitcnt lgkmcnt(0)
	v_add_f32_e32 v3, v2, v3
	v_cndmask_b32_e64 v2, v2, v3, s0
	v_add_lshl_u32 v3, v4, v21, 2
	v_cmp_gt_u32_e64 s0, s2, v1
	ds_bpermute_b32 v3, v3, v2
	s_waitcnt lgkmcnt(0)
	v_add_f32_e32 v3, v2, v3
	s_delay_alu instid0(VALU_DEP_1) | instskip(NEXT) | instid1(VALU_DEP_1)
	v_cndmask_b32_e64 v1, v2, v3, s0
	v_cndmask_b32_e32 v1, v0, v1, vcc_lo
.LBB79_87:
	s_or_b32 exec_lo, exec_lo, s1
	s_and_saveexec_b32 s0, s8
	s_cbranch_execz .LBB79_93
; %bb.88:
	v_bfrev_b32_e32 v2, 1
	s_mov_b32 s0, exec_lo
.LBB79_89:                              ; =>This Inner Loop Header: Depth=1
	s_delay_alu instid0(SALU_CYCLE_1) | instskip(NEXT) | instid1(SALU_CYCLE_1)
	s_ctz_i32_b32 s1, s0
	v_readlane_b32 s2, v1, s1
	s_lshl_b32 s1, 1, s1
	s_delay_alu instid0(SALU_CYCLE_1) | instskip(NEXT) | instid1(SALU_CYCLE_1)
	s_and_not1_b32 s0, s0, s1
	s_cmp_lg_u32 s0, 0
	s_delay_alu instid0(VALU_DEP_1)
	v_add_f32_e32 v2, s2, v2
	s_cbranch_scc1 .LBB79_89
; %bb.90:
	v_mbcnt_lo_u32_b32 v0, exec_lo, 0
	s_mov_b32 s0, 0
	s_mov_b32 s1, exec_lo
	s_delay_alu instid0(VALU_DEP_1)
	v_cmpx_eq_u32_e32 0, v0
	s_xor_b32 s1, exec_lo, s1
	s_cbranch_execz .LBB79_93
; %bb.91:
	v_mov_b32_e32 v3, 0
	global_load_b32 v1, v3, s[10:11]
.LBB79_92:                              ; =>This Inner Loop Header: Depth=1
	s_waitcnt vmcnt(0)
	v_add_f32_e32 v0, v1, v2
	global_atomic_cmpswap_b32 v0, v3, v[0:1], s[10:11] glc
	s_waitcnt vmcnt(0)
	v_cmp_eq_u32_e32 vcc_lo, v0, v1
	v_mov_b32_e32 v1, v0
	s_or_b32 s0, vcc_lo, s0
	s_delay_alu instid0(SALU_CYCLE_1)
	s_and_not1_b32 exec_lo, exec_lo, s0
	s_cbranch_execnz .LBB79_92
.LBB79_93:
	s_endpgm
	.section	.rodata,"a",@progbits
	.p2align	6, 0x0
	.amdhsa_kernel _Z38kPreconditionOptimizerStatic8bit1StateIfLi5EEvPT_S1_PhPffffiS3_S3_S3_ffi
		.amdhsa_group_segment_fixed_size 17920
		.amdhsa_private_segment_fixed_size 0
		.amdhsa_kernarg_size 344
		.amdhsa_user_sgpr_count 15
		.amdhsa_user_sgpr_dispatch_ptr 0
		.amdhsa_user_sgpr_queue_ptr 0
		.amdhsa_user_sgpr_kernarg_segment_ptr 1
		.amdhsa_user_sgpr_dispatch_id 0
		.amdhsa_user_sgpr_private_segment_size 0
		.amdhsa_wavefront_size32 1
		.amdhsa_uses_dynamic_stack 0
		.amdhsa_enable_private_segment 0
		.amdhsa_system_sgpr_workgroup_id_x 1
		.amdhsa_system_sgpr_workgroup_id_y 0
		.amdhsa_system_sgpr_workgroup_id_z 0
		.amdhsa_system_sgpr_workgroup_info 0
		.amdhsa_system_vgpr_workitem_id 0
		.amdhsa_next_free_vgpr 95
		.amdhsa_next_free_sgpr 52
		.amdhsa_reserve_vcc 1
		.amdhsa_float_round_mode_32 0
		.amdhsa_float_round_mode_16_64 0
		.amdhsa_float_denorm_mode_32 3
		.amdhsa_float_denorm_mode_16_64 3
		.amdhsa_dx10_clamp 1
		.amdhsa_ieee_mode 1
		.amdhsa_fp16_overflow 0
		.amdhsa_workgroup_processor_mode 1
		.amdhsa_memory_ordered 1
		.amdhsa_forward_progress 0
		.amdhsa_shared_vgpr_count 0
		.amdhsa_exception_fp_ieee_invalid_op 0
		.amdhsa_exception_fp_denorm_src 0
		.amdhsa_exception_fp_ieee_div_zero 0
		.amdhsa_exception_fp_ieee_overflow 0
		.amdhsa_exception_fp_ieee_underflow 0
		.amdhsa_exception_fp_ieee_inexact 0
		.amdhsa_exception_int_div_zero 0
	.end_amdhsa_kernel
	.section	.text._Z38kPreconditionOptimizerStatic8bit1StateIfLi5EEvPT_S1_PhPffffiS3_S3_S3_ffi,"axG",@progbits,_Z38kPreconditionOptimizerStatic8bit1StateIfLi5EEvPT_S1_PhPffffiS3_S3_S3_ffi,comdat
.Lfunc_end79:
	.size	_Z38kPreconditionOptimizerStatic8bit1StateIfLi5EEvPT_S1_PhPffffiS3_S3_S3_ffi, .Lfunc_end79-_Z38kPreconditionOptimizerStatic8bit1StateIfLi5EEvPT_S1_PhPffffiS3_S3_S3_ffi
                                        ; -- End function
	.section	.AMDGPU.csdata,"",@progbits
; Kernel info:
; codeLenInByte = 5484
; NumSgprs: 54
; NumVgprs: 95
; ScratchSize: 0
; MemoryBound: 0
; FloatMode: 240
; IeeeMode: 1
; LDSByteSize: 17920 bytes/workgroup (compile time only)
; SGPRBlocks: 6
; VGPRBlocks: 11
; NumSGPRsForWavesPerEU: 54
; NumVGPRsForWavesPerEU: 95
; Occupancy: 14
; WaveLimiterHint : 0
; COMPUTE_PGM_RSRC2:SCRATCH_EN: 0
; COMPUTE_PGM_RSRC2:USER_SGPR: 15
; COMPUTE_PGM_RSRC2:TRAP_HANDLER: 0
; COMPUTE_PGM_RSRC2:TGID_X_EN: 1
; COMPUTE_PGM_RSRC2:TGID_Y_EN: 0
; COMPUTE_PGM_RSRC2:TGID_Z_EN: 0
; COMPUTE_PGM_RSRC2:TIDIG_COMP_CNT: 0
	.section	.text._Z38kPreconditionOptimizerStatic8bit1StateI6__halfLi4EEvPT_S2_PhPffffiS4_S4_S4_ffi,"axG",@progbits,_Z38kPreconditionOptimizerStatic8bit1StateI6__halfLi4EEvPT_S2_PhPffffiS4_S4_S4_ffi,comdat
